;; amdgpu-corpus repo=ROCm/rocFFT kind=compiled arch=gfx950 opt=O3
	.text
	.amdgcn_target "amdgcn-amd-amdhsa--gfx950"
	.amdhsa_code_object_version 6
	.protected	fft_rtc_back_len156_factors_3_4_13_wgs_117_tpt_13_sp_op_CI_CI_unitstride_sbrr_dirReg ; -- Begin function fft_rtc_back_len156_factors_3_4_13_wgs_117_tpt_13_sp_op_CI_CI_unitstride_sbrr_dirReg
	.globl	fft_rtc_back_len156_factors_3_4_13_wgs_117_tpt_13_sp_op_CI_CI_unitstride_sbrr_dirReg
	.p2align	8
	.type	fft_rtc_back_len156_factors_3_4_13_wgs_117_tpt_13_sp_op_CI_CI_unitstride_sbrr_dirReg,@function
fft_rtc_back_len156_factors_3_4_13_wgs_117_tpt_13_sp_op_CI_CI_unitstride_sbrr_dirReg: ; @fft_rtc_back_len156_factors_3_4_13_wgs_117_tpt_13_sp_op_CI_CI_unitstride_sbrr_dirReg
; %bb.0:
	s_load_dwordx4 s[4:7], s[0:1], 0x58
	s_load_dwordx4 s[8:11], s[0:1], 0x0
	;; [unrolled: 1-line block ×3, first 2 shown]
	v_mul_u32_u24_e32 v1, 0x13b2, v0
	v_lshrrev_b32_e32 v2, 16, v1
	v_mad_u64_u32 v[2:3], s[2:3], s2, 9, v[2:3]
	v_mov_b32_e32 v6, 0
	v_mov_b32_e32 v3, v6
	s_waitcnt lgkmcnt(0)
	v_cmp_lt_u64_e64 s[2:3], s[10:11], 2
	v_mov_b64_e32 v[4:5], 0
	s_and_b64 vcc, exec, s[2:3]
	v_mov_b64_e32 v[24:25], v[4:5]
	v_mov_b64_e32 v[28:29], v[2:3]
	s_cbranch_vccnz .LBB0_8
; %bb.1:
	s_load_dwordx2 s[2:3], s[0:1], 0x10
	s_add_u32 s16, s14, 8
	s_addc_u32 s17, s15, 0
	s_add_u32 s18, s12, 8
	s_addc_u32 s19, s13, 0
	s_waitcnt lgkmcnt(0)
	s_add_u32 s20, s2, 8
	v_mov_b64_e32 v[4:5], 0
	s_addc_u32 s21, s3, 0
	s_mov_b64 s[22:23], 1
	v_mov_b64_e32 v[24:25], v[4:5]
	v_mov_b64_e32 v[8:9], v[2:3]
.LBB0_2:                                ; =>This Inner Loop Header: Depth=1
	s_load_dwordx2 s[24:25], s[20:21], 0x0
                                        ; implicit-def: $vgpr28_vgpr29
	s_waitcnt lgkmcnt(0)
	v_or_b32_e32 v7, s25, v9
	v_cmp_ne_u64_e32 vcc, 0, v[6:7]
	s_and_saveexec_b64 s[2:3], vcc
	s_xor_b64 s[26:27], exec, s[2:3]
	s_cbranch_execz .LBB0_4
; %bb.3:                                ;   in Loop: Header=BB0_2 Depth=1
	v_cvt_f32_u32_e32 v1, s24
	v_cvt_f32_u32_e32 v3, s25
	s_sub_u32 s2, 0, s24
	s_subb_u32 s3, 0, s25
	v_fmac_f32_e32 v1, 0x4f800000, v3
	v_rcp_f32_e32 v1, v1
	s_nop 0
	v_mul_f32_e32 v1, 0x5f7ffffc, v1
	v_mul_f32_e32 v3, 0x2f800000, v1
	v_trunc_f32_e32 v3, v3
	v_fmac_f32_e32 v1, 0xcf800000, v3
	v_cvt_u32_f32_e32 v3, v3
	v_cvt_u32_f32_e32 v1, v1
	v_mul_lo_u32 v7, s2, v3
	v_mul_hi_u32 v10, s2, v1
	v_mul_lo_u32 v11, s3, v1
	v_add_u32_e32 v7, v10, v7
	v_mul_lo_u32 v14, s2, v1
	v_add_u32_e32 v7, v7, v11
	v_mul_hi_u32 v10, v1, v14
	v_mul_hi_u32 v13, v1, v7
	v_mul_lo_u32 v12, v1, v7
	v_mov_b32_e32 v11, v6
	v_lshl_add_u64 v[10:11], v[10:11], 0, v[12:13]
	v_mul_hi_u32 v13, v3, v14
	v_mul_lo_u32 v14, v3, v14
	v_add_co_u32_e32 v10, vcc, v10, v14
	v_mul_hi_u32 v12, v3, v7
	s_nop 0
	v_addc_co_u32_e32 v10, vcc, v11, v13, vcc
	v_mov_b32_e32 v11, v6
	s_nop 0
	v_addc_co_u32_e32 v13, vcc, 0, v12, vcc
	v_mul_lo_u32 v12, v3, v7
	v_lshl_add_u64 v[10:11], v[10:11], 0, v[12:13]
	v_add_co_u32_e32 v1, vcc, v1, v10
	v_mul_hi_u32 v10, s2, v1
	s_nop 0
	v_addc_co_u32_e32 v3, vcc, v3, v11, vcc
	v_mul_lo_u32 v7, s2, v3
	v_add_u32_e32 v7, v10, v7
	v_mul_lo_u32 v10, s3, v1
	v_add_u32_e32 v7, v7, v10
	v_mul_lo_u32 v12, s2, v1
	v_mul_hi_u32 v15, v3, v12
	v_mul_lo_u32 v16, v3, v12
	v_mul_hi_u32 v11, v1, v7
	;; [unrolled: 2-line block ×3, first 2 shown]
	v_mov_b32_e32 v13, v6
	v_lshl_add_u64 v[10:11], v[12:13], 0, v[10:11]
	v_add_co_u32_e32 v10, vcc, v10, v16
	v_mul_hi_u32 v14, v3, v7
	s_nop 0
	v_addc_co_u32_e32 v10, vcc, v11, v15, vcc
	v_mul_lo_u32 v12, v3, v7
	s_nop 0
	v_addc_co_u32_e32 v13, vcc, 0, v14, vcc
	v_mov_b32_e32 v11, v6
	v_lshl_add_u64 v[10:11], v[10:11], 0, v[12:13]
	v_add_co_u32_e32 v1, vcc, v1, v10
	v_mul_hi_u32 v12, v8, v1
	s_nop 0
	v_addc_co_u32_e32 v3, vcc, v3, v11, vcc
	v_mad_u64_u32 v[10:11], s[2:3], v8, v3, 0
	v_mov_b32_e32 v13, v6
	v_lshl_add_u64 v[10:11], v[12:13], 0, v[10:11]
	v_mad_u64_u32 v[14:15], s[2:3], v9, v1, 0
	v_add_co_u32_e32 v1, vcc, v10, v14
	v_mad_u64_u32 v[12:13], s[2:3], v9, v3, 0
	s_nop 0
	v_addc_co_u32_e32 v10, vcc, v11, v15, vcc
	v_mov_b32_e32 v11, v6
	s_nop 0
	v_addc_co_u32_e32 v13, vcc, 0, v13, vcc
	v_lshl_add_u64 v[10:11], v[10:11], 0, v[12:13]
	v_mul_lo_u32 v1, s25, v10
	v_mul_lo_u32 v3, s24, v11
	v_mad_u64_u32 v[12:13], s[2:3], s24, v10, 0
	v_add3_u32 v1, v13, v3, v1
	v_sub_u32_e32 v3, v9, v1
	v_mov_b32_e32 v7, s25
	v_sub_co_u32_e32 v16, vcc, v8, v12
	v_lshl_add_u64 v[14:15], v[10:11], 0, 1
	s_nop 0
	v_subb_co_u32_e64 v3, s[2:3], v3, v7, vcc
	v_subrev_co_u32_e64 v7, s[2:3], s24, v16
	v_subb_co_u32_e32 v1, vcc, v9, v1, vcc
	s_nop 0
	v_subbrev_co_u32_e64 v3, s[2:3], 0, v3, s[2:3]
	v_cmp_le_u32_e64 s[2:3], s25, v3
	v_cmp_le_u32_e32 vcc, s25, v1
	s_nop 0
	v_cndmask_b32_e64 v12, 0, -1, s[2:3]
	v_cmp_le_u32_e64 s[2:3], s24, v7
	s_nop 1
	v_cndmask_b32_e64 v7, 0, -1, s[2:3]
	v_cmp_eq_u32_e64 s[2:3], s25, v3
	s_nop 1
	v_cndmask_b32_e64 v3, v12, v7, s[2:3]
	v_lshl_add_u64 v[12:13], v[10:11], 0, 2
	v_cmp_ne_u32_e64 s[2:3], 0, v3
	v_cndmask_b32_e64 v7, 0, -1, vcc
	v_cmp_le_u32_e32 vcc, s24, v16
	v_cndmask_b32_e64 v3, v15, v13, s[2:3]
	s_nop 0
	v_cndmask_b32_e64 v13, 0, -1, vcc
	v_cmp_eq_u32_e32 vcc, s25, v1
	s_nop 1
	v_cndmask_b32_e32 v1, v7, v13, vcc
	v_cmp_ne_u32_e32 vcc, 0, v1
	v_cndmask_b32_e64 v1, v14, v12, s[2:3]
	s_nop 0
	v_cndmask_b32_e32 v29, v11, v3, vcc
	v_cndmask_b32_e32 v28, v10, v1, vcc
.LBB0_4:                                ;   in Loop: Header=BB0_2 Depth=1
	s_andn2_saveexec_b64 s[2:3], s[26:27]
	s_cbranch_execz .LBB0_6
; %bb.5:                                ;   in Loop: Header=BB0_2 Depth=1
	v_cvt_f32_u32_e32 v1, s24
	s_sub_i32 s26, 0, s24
	v_mov_b32_e32 v29, v6
	v_rcp_iflag_f32_e32 v1, v1
	s_nop 0
	v_mul_f32_e32 v1, 0x4f7ffffe, v1
	v_cvt_u32_f32_e32 v1, v1
	v_mul_lo_u32 v3, s26, v1
	v_mul_hi_u32 v3, v1, v3
	v_add_u32_e32 v1, v1, v3
	v_mul_hi_u32 v1, v8, v1
	v_mul_lo_u32 v3, v1, s24
	v_sub_u32_e32 v3, v8, v3
	v_add_u32_e32 v7, 1, v1
	v_subrev_u32_e32 v10, s24, v3
	v_cmp_le_u32_e32 vcc, s24, v3
	s_nop 1
	v_cndmask_b32_e32 v3, v3, v10, vcc
	v_cndmask_b32_e32 v1, v1, v7, vcc
	v_add_u32_e32 v7, 1, v1
	v_cmp_le_u32_e32 vcc, s24, v3
	s_nop 1
	v_cndmask_b32_e32 v28, v1, v7, vcc
.LBB0_6:                                ;   in Loop: Header=BB0_2 Depth=1
	s_or_b64 exec, exec, s[2:3]
	v_mad_u64_u32 v[10:11], s[2:3], v28, s24, 0
	s_load_dwordx2 s[2:3], s[18:19], 0x0
	s_add_u32 s22, s22, 1
	v_mul_lo_u32 v1, v29, s24
	v_mul_lo_u32 v3, v28, s25
	s_load_dwordx2 s[24:25], s[16:17], 0x0
	s_addc_u32 s23, s23, 0
	v_add3_u32 v1, v11, v3, v1
	v_sub_co_u32_e32 v3, vcc, v8, v10
	s_add_u32 s16, s16, 8
	s_nop 0
	v_subb_co_u32_e32 v1, vcc, v9, v1, vcc
	s_addc_u32 s17, s17, 0
	s_waitcnt lgkmcnt(0)
	v_mul_lo_u32 v7, s2, v1
	v_mul_lo_u32 v8, s3, v3
	v_mad_u64_u32 v[4:5], s[2:3], s2, v3, v[4:5]
	s_add_u32 s18, s18, 8
	v_add3_u32 v5, v8, v5, v7
	s_addc_u32 s19, s19, 0
	v_mov_b64_e32 v[8:9], s[10:11]
	v_mul_lo_u32 v1, s24, v1
	v_mul_lo_u32 v7, s25, v3
	v_mad_u64_u32 v[24:25], s[2:3], s24, v3, v[24:25]
	s_add_u32 s20, s20, 8
	v_cmp_ge_u64_e32 vcc, s[22:23], v[8:9]
	v_add3_u32 v25, v7, v25, v1
	s_addc_u32 s21, s21, 0
	s_cbranch_vccnz .LBB0_8
; %bb.7:                                ;   in Loop: Header=BB0_2 Depth=1
	v_mov_b64_e32 v[8:9], v[28:29]
	s_branch .LBB0_2
.LBB0_8:
	s_load_dwordx2 s[0:1], s[0:1], 0x28
	s_lshl_b64 s[10:11], s[10:11], 3
	s_add_u32 s2, s14, s10
	s_addc_u32 s3, s15, s11
                                        ; implicit-def: $vgpr30
	s_waitcnt lgkmcnt(0)
	v_cmp_gt_u64_e32 vcc, s[0:1], v[28:29]
	v_cmp_le_u64_e64 s[0:1], s[0:1], v[28:29]
	s_and_saveexec_b64 s[14:15], s[0:1]
	s_xor_b64 s[0:1], exec, s[14:15]
; %bb.9:
	s_mov_b32 s14, 0x13b13b14
	v_mul_hi_u32 v1, v0, s14
	v_mul_u32_u24_e32 v1, 13, v1
	v_sub_u32_e32 v30, v0, v1
                                        ; implicit-def: $vgpr0
                                        ; implicit-def: $vgpr4_vgpr5
; %bb.10:
	s_or_saveexec_b64 s[0:1], s[0:1]
                                        ; implicit-def: $vgpr26
                                        ; implicit-def: $vgpr32
                                        ; implicit-def: $vgpr34
                                        ; implicit-def: $vgpr18
                                        ; implicit-def: $vgpr20
                                        ; implicit-def: $vgpr22
                                        ; implicit-def: $vgpr16
                                        ; implicit-def: $vgpr12
                                        ; implicit-def: $vgpr14
                                        ; implicit-def: $vgpr6
                                        ; implicit-def: $vgpr8
                                        ; implicit-def: $vgpr10
	s_xor_b64 exec, exec, s[0:1]
	s_cbranch_execz .LBB0_12
; %bb.11:
	s_add_u32 s10, s12, s10
	s_addc_u32 s11, s13, s11
	s_load_dwordx2 s[10:11], s[10:11], 0x0
	s_mov_b32 s12, 0x13b13b14
	s_waitcnt lgkmcnt(0)
	v_mul_lo_u32 v1, s11, v28
	v_mul_lo_u32 v3, s10, v29
	v_mad_u64_u32 v[6:7], s[10:11], s10, v28, 0
	v_add3_u32 v7, v7, v3, v1
	v_mul_hi_u32 v1, v0, s12
	v_mul_u32_u24_e32 v1, 13, v1
	v_sub_u32_e32 v30, v0, v1
	v_lshl_add_u64 v[0:1], v[6:7], 3, s[4:5]
	v_lshl_add_u64 v[0:1], v[4:5], 3, v[0:1]
	v_lshlrev_b32_e32 v4, 3, v30
	v_mov_b32_e32 v5, 0
	v_lshl_add_u64 v[0:1], v[0:1], 0, v[4:5]
	global_load_dwordx2 v[26:27], v[0:1], off
	global_load_dwordx2 v[18:19], v[0:1], off offset:104
	global_load_dwordx2 v[12:13], v[0:1], off offset:208
	;; [unrolled: 1-line block ×11, first 2 shown]
.LBB0_12:
	s_or_b64 exec, exec, s[0:1]
	s_mov_b32 s0, 0x38e38e39
	v_mul_hi_u32 v0, v2, s0
	v_lshrrev_b32_e32 v0, 1, v0
	v_lshl_add_u32 v0, v0, 3, v0
	v_sub_u32_e32 v0, v2, v0
	v_mul_u32_u24_e32 v31, 0x9c, v0
	s_waitcnt vmcnt(7)
	v_pk_add_f32 v[0:1], v[26:27], v[32:33]
	s_waitcnt vmcnt(3)
	v_pk_add_f32 v[38:39], v[32:33], v[34:35]
	v_pk_add_f32 v[32:33], v[32:33], v[34:35] neg_lo:[0,1] neg_hi:[0,1]
	s_mov_b32 s0, 0x3f5db3d7
	v_lshlrev_b32_e32 v31, 3, v31
	v_pk_fma_f32 v[26:27], v[38:39], 0.5, v[26:27] op_sel_hi:[1,0,1] neg_lo:[1,0,0] neg_hi:[1,0,0]
	v_pk_mul_f32 v[32:33], v[32:33], s[0:1] op_sel_hi:[1,0]
	v_add_u32_e32 v52, 0, v31
	v_pk_add_f32 v[0:1], v[0:1], v[34:35]
	v_pk_add_f32 v[34:35], v[26:27], v[32:33] op_sel:[0,1] op_sel_hi:[1,0] neg_lo:[0,1] neg_hi:[0,1]
	v_pk_add_f32 v[26:27], v[26:27], v[32:33] op_sel:[0,1] op_sel_hi:[1,0]
	v_pk_add_f32 v[2:3], v[18:19], v[20:21]
	v_mad_u32_u24 v40, v30, 24, v52
	v_mov_b32_e32 v32, v34
	v_mov_b32_e32 v33, v27
	ds_write2_b64 v40, v[0:1], v[32:33] offset1:1
	s_waitcnt vmcnt(2)
	v_pk_add_f32 v[0:1], v[2:3], v[22:23]
	v_pk_add_f32 v[2:3], v[20:21], v[22:23]
	;; [unrolled: 1-line block ×3, first 2 shown]
	v_pk_fma_f32 v[2:3], v[2:3], 0.5, v[18:19] op_sel_hi:[1,0,1] neg_lo:[1,0,0] neg_hi:[1,0,0]
	v_pk_add_f32 v[18:19], v[20:21], v[22:23] neg_lo:[0,1] neg_hi:[0,1]
	v_mov_b32_e32 v27, v35
	v_pk_mul_f32 v[18:19], v[18:19], s[0:1] op_sel_hi:[1,0]
	v_pk_add_f32 v[36:37], v[6:7], v[8:9]
	v_pk_add_f32 v[20:21], v[2:3], v[18:19] op_sel:[0,1] op_sel_hi:[1,0] neg_lo:[0,1] neg_hi:[0,1]
	v_pk_add_f32 v[2:3], v[2:3], v[18:19] op_sel:[0,1] op_sel_hi:[1,0]
	v_mov_b32_e32 v18, v20
	v_mov_b32_e32 v19, v3
	;; [unrolled: 1-line block ×3, first 2 shown]
	ds_write2_b64 v40, v[0:1], v[18:19] offset0:39 offset1:40
	ds_write2_b64 v40, v[26:27], v[2:3] offset0:2 offset1:41
	s_waitcnt vmcnt(1)
	v_pk_add_f32 v[0:1], v[16:17], v[4:5]
	v_pk_add_f32 v[2:3], v[16:17], v[14:15]
	v_pk_add_f32 v[4:5], v[14:15], v[16:17] neg_lo:[0,1] neg_hi:[0,1]
	v_pk_fma_f32 v[2:3], v[2:3], 0.5, v[12:13] op_sel_hi:[1,0,1] neg_lo:[1,0,0] neg_hi:[1,0,0]
	v_pk_mul_f32 v[4:5], v[4:5], s[0:1] op_sel_hi:[1,0]
	s_load_dwordx2 s[4:5], s[2:3], 0x0
	v_pk_add_f32 v[12:13], v[2:3], v[4:5] op_sel:[0,1] op_sel_hi:[1,0] neg_lo:[0,1] neg_hi:[0,1]
	v_pk_add_f32 v[2:3], v[2:3], v[4:5] op_sel:[0,1] op_sel_hi:[1,0]
	v_mov_b32_e32 v4, v12
	v_mov_b32_e32 v5, v3
	ds_write2_b64 v40, v[0:1], v[4:5] offset0:78 offset1:79
	s_waitcnt vmcnt(0)
	v_pk_add_f32 v[4:5], v[8:9], v[10:11]
	v_pk_add_f32 v[0:1], v[36:37], v[10:11]
	v_pk_fma_f32 v[4:5], v[4:5], 0.5, v[6:7] op_sel_hi:[1,0,1] neg_lo:[1,0,0] neg_hi:[1,0,0]
	v_pk_add_f32 v[6:7], v[8:9], v[10:11] neg_lo:[0,1] neg_hi:[0,1]
	v_mov_b32_e32 v3, v13
	v_pk_mul_f32 v[6:7], v[6:7], s[0:1] op_sel_hi:[1,0]
	s_movk_i32 s0, 0xab
	v_pk_add_f32 v[8:9], v[4:5], v[6:7] op_sel:[0,1] op_sel_hi:[1,0] neg_lo:[0,1] neg_hi:[0,1]
	v_pk_add_f32 v[4:5], v[4:5], v[6:7] op_sel:[0,1] op_sel_hi:[1,0]
	v_mov_b32_e32 v6, v8
	v_mov_b32_e32 v7, v5
	ds_write2_b64 v40, v[0:1], v[6:7] offset0:117 offset1:118
	v_mul_lo_u16_sdwa v0, v30, s0 dst_sel:DWORD dst_unused:UNUSED_PAD src0_sel:BYTE_0 src1_sel:DWORD
	v_lshrrev_b16_e32 v19, 9, v0
	v_mul_lo_u16_e32 v0, 3, v19
	v_mov_b32_e32 v5, v9
	v_sub_u16_e32 v53, v30, v0
	ds_write2_b64 v40, v[2:3], v[4:5] offset0:80 offset1:119
	v_mul_lo_u16_e32 v0, 3, v53
	v_mov_b32_e32 v4, 3
	v_lshlrev_b32_sdwa v5, v4, v0 dst_sel:DWORD dst_unused:UNUSED_PAD src0_sel:DWORD src1_sel:BYTE_0
	s_waitcnt lgkmcnt(0)
	s_barrier
	global_load_dwordx4 v[0:3], v5, s[8:9]
	global_load_dwordx2 v[8:9], v5, s[8:9] offset:16
	v_add_u16_e32 v5, 13, v30
	v_mul_lo_u16_sdwa v6, v5, s0 dst_sel:DWORD dst_unused:UNUSED_PAD src0_sel:BYTE_0 src1_sel:DWORD
	v_lshrrev_b16_e32 v54, 9, v6
	v_mul_lo_u16_e32 v6, 3, v54
	v_sub_u16_e32 v55, v5, v6
	v_mul_lo_u16_e32 v5, 3, v55
	v_lshlrev_b32_sdwa v14, v4, v5 dst_sel:DWORD dst_unused:UNUSED_PAD src0_sel:DWORD src1_sel:BYTE_0
	v_add_u16_e32 v5, 26, v30
	v_mul_lo_u16_sdwa v6, v5, s0 dst_sel:DWORD dst_unused:UNUSED_PAD src0_sel:BYTE_0 src1_sel:DWORD
	v_lshrrev_b16_e32 v56, 9, v6
	v_mul_lo_u16_e32 v6, 3, v56
	global_load_dwordx2 v[26:27], v14, s[8:9] offset:16
	v_sub_u16_e32 v57, v5, v6
	v_mul_u32_u24_sdwa v4, v57, v4 dst_sel:DWORD dst_unused:UNUSED_PAD src0_sel:BYTE_0 src1_sel:DWORD
	v_lshlrev_b32_e32 v10, 3, v4
	global_load_dwordx4 v[4:7], v10, s[8:9]
	global_load_dwordx2 v[36:37], v10, s[8:9] offset:16
	v_lshlrev_b32_e32 v10, 3, v30
	global_load_dwordx4 v[14:17], v14, s[8:9]
	v_add3_u32 v31, 0, v10, v31
	v_add_u32_e32 v18, v52, v10
	ds_read2_b64 v[10:13], v31 offset0:39 offset1:52
	ds_read_b64 v[38:39], v18
	ds_read2_b64 v[20:23], v31 offset0:65 offset1:78
	ds_read2_b64 v[32:35], v31 offset0:104 offset1:117
	ds_read2_b32 v[40:41], v31 offset0:182 offset1:183
	v_cmp_gt_u32_e64 s[0:1], 12, v30
	s_waitcnt vmcnt(5) lgkmcnt(4)
	v_mul_f32_e32 v42, v1, v11
	v_mul_f32_e32 v1, v1, v10
	v_fmac_f32_e32 v42, v0, v10
	v_fma_f32 v43, v0, v11, -v1
	s_waitcnt lgkmcnt(2)
	v_mul_f32_e32 v10, v3, v23
	v_mul_f32_e32 v0, v3, v22
	v_fmac_f32_e32 v10, v2, v22
	v_fma_f32 v11, v2, v23, -v0
	ds_read2_b64 v[0:3], v31 offset0:130 offset1:143
	s_waitcnt vmcnt(4) lgkmcnt(2)
	v_mul_f32_e32 v22, v9, v35
	v_mul_f32_e32 v9, v9, v34
	v_fmac_f32_e32 v22, v8, v34
	v_fma_f32 v23, v8, v35, -v9
	s_waitcnt vmcnt(3) lgkmcnt(0)
	v_pk_mul_f32 v[8:9], v[0:1], v[26:27]
	v_mov_b32_e32 v44, v27
	v_mov_b32_e32 v8, v9
	v_pk_fma_f32 v[8:9], v[0:1], v[26:27], v[8:9]
	v_mov_b32_e32 v34, v1
	v_pk_mul_f32 v[0:1], v[0:1], v[44:45]
	s_waitcnt vmcnt(2)
	v_mov_b32_e32 v44, v5
	v_pk_fma_f32 v[34:35], v[34:35], v[26:27], v[0:1] neg_lo:[0,0,1] neg_hi:[0,0,1]
	v_pk_mul_f32 v[0:1], v[20:21], v[4:5]
	v_mov_b32_e32 v26, v21
	v_pk_mul_f32 v[20:21], v[20:21], v[44:45]
	v_mul_u32_u24_e32 v9, 12, v56
	v_pk_fma_f32 v[44:45], v[26:27], v[4:5], v[20:21] neg_lo:[0,0,1] neg_hi:[0,0,1]
	v_pk_mul_f32 v[4:5], v[32:33], v[6:7]
	v_mov_b32_e32 v20, v7
	v_mov_b32_e32 v4, v5
	v_pk_fma_f32 v[46:47], v[32:33], v[6:7], v[4:5]
	v_mov_b32_e32 v4, v33
	v_pk_mul_f32 v[20:21], v[32:33], v[20:21]
	v_or_b32_sdwa v9, v9, v57 dst_sel:DWORD dst_unused:UNUSED_PAD src0_sel:DWORD src1_sel:BYTE_0
	v_pk_fma_f32 v[48:49], v[4:5], v[6:7], v[20:21] neg_lo:[0,0,1] neg_hi:[0,0,1]
	s_waitcnt vmcnt(1)
	v_pk_mul_f32 v[4:5], v[2:3], v[36:37]
	v_mov_b32_e32 v6, v0
	v_mov_b32_e32 v7, v4
	;; [unrolled: 1-line block ×3, first 2 shown]
	v_pk_add_f32 v[50:51], v[6:7], v[4:5]
	v_mov_b32_e32 v4, v37
	v_mov_b32_e32 v0, v3
	v_pk_mul_f32 v[2:3], v[2:3], v[4:5]
	v_pk_add_f32 v[6:7], v[42:43], v[22:23] neg_lo:[0,1] neg_hi:[0,1]
	v_pk_fma_f32 v[36:37], v[0:1], v[36:37], v[2:3] neg_lo:[0,0,1] neg_hi:[0,0,1]
	v_pk_add_f32 v[0:1], v[38:39], v[10:11] neg_lo:[0,1] neg_hi:[0,1]
	v_pk_fma_f32 v[2:3], v[42:43], 2.0, v[6:7] op_sel_hi:[1,0,1] neg_lo:[0,0,1] neg_hi:[0,0,1]
	v_pk_fma_f32 v[4:5], v[38:39], 2.0, v[0:1] op_sel_hi:[1,0,1] neg_lo:[0,0,1] neg_hi:[0,0,1]
	v_mov_b32_e32 v10, v50
	v_pk_add_f32 v[2:3], v[4:5], v[2:3] neg_lo:[0,1] neg_hi:[0,1]
	v_mov_b32_e32 v11, v44
	v_pk_fma_f32 v[26:27], v[4:5], 2.0, v[2:3] op_sel_hi:[1,0,1] neg_lo:[0,0,1] neg_hi:[0,0,1]
	v_mul_lo_u16_e32 v4, 12, v19
	v_or_b32_e32 v4, v4, v53
	v_and_b32_e32 v4, 0xff, v4
	v_lshl_add_u32 v19, v4, 3, v52
	v_mul_lo_u16_e32 v4, 12, v54
	v_or_b32_e32 v4, v4, v55
	v_mov_b32_e32 v22, v51
	v_mov_b32_e32 v23, v36
	v_pk_add_f32 v[20:21], v[0:1], v[6:7] op_sel:[1,0] op_sel_hi:[0,1]
	v_and_b32_e32 v4, 0xff, v4
	v_pk_add_f32 v[44:45], v[10:11], v[22:23] neg_lo:[0,1] neg_hi:[0,1]
	s_waitcnt vmcnt(0)
	v_pk_mul_f32 v[22:23], v[14:15], v[12:13] op_sel:[0,1]
	v_pk_add_f32 v[32:33], v[0:1], v[6:7] op_sel:[1,0] op_sel_hi:[0,1] neg_lo:[0,1] neg_hi:[0,1]
	v_lshl_add_u32 v20, v4, 3, v52
	ds_read2_b64 v[4:7], v31 offset0:13 offset1:26
	v_pk_fma_f32 v[36:37], v[14:15], v[12:13], v[22:23] op_sel:[0,0,1] op_sel_hi:[1,1,0]
	v_pk_fma_f32 v[12:13], v[14:15], v[12:13], v[22:23] op_sel:[0,0,1] op_sel_hi:[1,0,0] neg_lo:[1,0,0] neg_hi:[1,0,0]
	v_lshl_add_u32 v33, v9, 3, v52
	v_mov_b32_e32 v12, v41
	v_mov_b32_e32 v37, v13
	v_pk_mul_f32 v[12:13], v[12:13], v[16:17] op_sel_hi:[0,1]
	v_pk_fma_f32 v[14:15], v[16:17], v[40:41], v[12:13] op_sel:[0,0,1] op_sel_hi:[1,1,0]
	v_pk_fma_f32 v[12:13], v[16:17], v[40:41], v[12:13] op_sel:[0,0,1] op_sel_hi:[1,0,0] neg_lo:[1,0,0] neg_hi:[1,0,0]
	v_mov_b32_e32 v9, v34
	v_mov_b32_e32 v15, v13
	s_waitcnt lgkmcnt(0)
	v_pk_add_f32 v[12:13], v[4:5], v[14:15] neg_lo:[0,1] neg_hi:[0,1]
	v_pk_add_f32 v[8:9], v[36:37], v[8:9] neg_lo:[0,1] neg_hi:[0,1]
	v_mov_b32_e32 v47, v48
	v_pk_fma_f32 v[4:5], v[4:5], 2.0, v[12:13] op_sel_hi:[1,0,1] neg_lo:[0,0,1] neg_hi:[0,0,1]
	v_pk_fma_f32 v[14:15], v[36:37], 2.0, v[8:9] op_sel_hi:[1,0,1] neg_lo:[0,0,1] neg_hi:[0,0,1]
	v_pk_add_f32 v[42:43], v[6:7], v[46:47] neg_lo:[0,1] neg_hi:[0,1]
	v_pk_add_f32 v[14:15], v[4:5], v[14:15] neg_lo:[0,1] neg_hi:[0,1]
	v_pk_fma_f32 v[6:7], v[6:7], 2.0, v[42:43] op_sel_hi:[1,0,1] neg_lo:[0,0,1] neg_hi:[0,0,1]
	v_pk_fma_f32 v[10:11], v[10:11], 2.0, v[44:45] op_sel_hi:[1,0,1] neg_lo:[0,0,1] neg_hi:[0,0,1]
	;; [unrolled: 1-line block ×3, first 2 shown]
	v_pk_add_f32 v[34:35], v[12:13], v[8:9] op_sel:[0,1] op_sel_hi:[1,0]
	v_pk_add_f32 v[4:5], v[12:13], v[8:9] op_sel:[0,1] op_sel_hi:[1,0] neg_lo:[0,1] neg_hi:[0,1]
	v_pk_add_f32 v[36:37], v[42:43], v[44:45] op_sel:[0,1] op_sel_hi:[1,0]
	v_pk_add_f32 v[16:17], v[42:43], v[44:45] op_sel:[0,1] op_sel_hi:[1,0] neg_lo:[0,1] neg_hi:[0,1]
	v_mov_b32_e32 v38, v21
	v_mov_b32_e32 v39, v32
	v_pk_add_f32 v[10:11], v[6:7], v[10:11] neg_lo:[0,1] neg_hi:[0,1]
	v_mov_b32_e32 v35, v5
	v_mov_b32_e32 v37, v17
	v_pk_fma_f32 v[0:1], v[0:1], 2.0, v[38:39] op_sel_hi:[1,0,1] neg_lo:[0,0,1] neg_hi:[0,0,1]
	v_pk_fma_f32 v[6:7], v[6:7], 2.0, v[10:11] op_sel_hi:[1,0,1] neg_lo:[0,0,1] neg_hi:[0,0,1]
	;; [unrolled: 1-line block ×4, first 2 shown]
	s_barrier
	ds_write2_b64 v19, v[26:27], v[0:1] offset1:3
	ds_write2_b64 v19, v[2:3], v[38:39] offset0:6 offset1:9
	ds_write2_b64 v20, v[22:23], v[12:13] offset1:3
	ds_write2_b64 v20, v[14:15], v[34:35] offset0:6 offset1:9
	;; [unrolled: 2-line block ×3, first 2 shown]
	s_waitcnt lgkmcnt(0)
	s_barrier
	s_and_saveexec_b64 s[2:3], s[0:1]
	s_cbranch_execz .LBB0_14
; %bb.13:
	ds_read_b64 v[26:27], v18
	ds_read2_b64 v[0:3], v31 offset0:12 offset1:24
	ds_read2_b64 v[16:19], v31 offset0:132 offset1:144
	;; [unrolled: 1-line block ×6, first 2 shown]
	s_waitcnt lgkmcnt(4)
	v_mov_b32_e32 v36, v16
	s_waitcnt lgkmcnt(3)
	v_mov_b32_e32 v34, v4
	;; [unrolled: 2-line block ×3, first 2 shown]
	v_mov_b32_e32 v21, v20
.LBB0_14:
	s_or_b64 exec, exec, s[2:3]
	v_cmp_gt_u32_e64 s[2:3], 12, v30
	s_and_b64 s[2:3], vcc, s[2:3]
	s_and_saveexec_b64 s[10:11], s[2:3]
	s_cbranch_execz .LBB0_16
; %bb.15:
	v_add_u32_e32 v4, -12, v30
	v_cndmask_b32_e64 v4, v4, v30, s[0:1]
	v_mul_i32_i24_e32 v62, 12, v4
	v_mov_b32_e32 v63, 0
	v_lshl_add_u64 v[64:65], v[62:63], 3, s[8:9]
	global_load_dwordx4 v[38:41], v[64:65], off offset:136
	global_load_dwordx4 v[42:45], v[64:65], off offset:104
	;; [unrolled: 1-line block ×6, first 2 shown]
	v_mov_b32_e32 v70, v7
	v_mov_b32_e32 v72, v5
	;; [unrolled: 1-line block ×3, first 2 shown]
	v_mul_lo_u32 v3, s5, v28
	v_mul_lo_u32 v7, s4, v29
	v_mad_u64_u32 v[4:5], s[0:1], s4, v28, 0
	v_add3_u32 v5, v5, v7, v3
	v_lshl_add_u64 v[4:5], v[4:5], 3, s[6:7]
	s_waitcnt lgkmcnt(0)
	v_mov_b32_e32 v16, v11
	v_mov_b32_e32 v20, v9
	;; [unrolled: 1-line block ×8, first 2 shown]
	v_lshl_add_u64 v[4:5], v[24:25], 3, v[4:5]
	v_mov_b32_e32 v33, v21
	v_mov_b32_e32 v28, v21
	v_lshl_add_u64 v[4:5], v[30:31], 3, v[4:5]
	v_mov_b32_e32 v75, v2
	v_mov_b32_e32 v78, v23
	s_mov_b32 s1, 0xbeedf032
	s_mov_b32 s0, 0x3f62ad3f
	;; [unrolled: 1-line block ×34, first 2 shown]
	s_waitcnt vmcnt(5)
	v_pk_mul_f32 v[16:17], v[16:17], v[40:41] op_sel_hi:[0,1]
	v_pk_mul_f32 v[20:21], v[20:21], v[38:39] op_sel_hi:[0,1]
	s_waitcnt vmcnt(4)
	v_pk_mul_f32 v[24:25], v[62:63], v[42:43] op_sel_hi:[0,1]
	v_pk_mul_f32 v[30:31], v[64:65], v[44:45] op_sel_hi:[0,1]
	;; [unrolled: 3-line block ×4, first 2 shown]
	s_waitcnt vmcnt(1)
	v_pk_mul_f32 v[70:71], v[76:77], v[54:55] op_sel:[0,1] op_sel_hi:[1,0]
	v_pk_mul_f32 v[72:73], v[0:1], v[54:55] op_sel:[0,1] op_sel_hi:[1,0]
	v_pk_fma_f32 v[84:85], v[10:11], v[40:41], v[16:17] op_sel:[0,0,1] op_sel_hi:[0,1,0]
	v_pk_fma_f32 v[10:11], v[10:11], v[40:41], v[16:17] op_sel:[0,0,1] op_sel_hi:[0,1,0] neg_lo:[1,0,0] neg_hi:[1,0,0]
	v_pk_fma_f32 v[40:41], v[8:9], v[38:39], v[20:21] op_sel:[0,0,1] op_sel_hi:[0,1,0]
	v_pk_fma_f32 v[20:21], v[8:9], v[38:39], v[20:21] op_sel:[0,0,1] op_sel_hi:[0,1,0] neg_lo:[1,0,0] neg_hi:[1,0,0]
	;; [unrolled: 2-line block ×7, first 2 shown]
	v_pk_fma_f32 v[6:7], v[0:1], v[54:55], v[70:71]
	v_mov_b32_e32 v30, v73
	v_mov_b32_e32 v72, v57
	v_pk_mul_f32 v[76:77], v[74:75], v[56:57]
	s_waitcnt vmcnt(0)
	v_mov_b32_e32 v81, v60
	v_pk_mul_f32 v[22:23], v[22:23], v[60:61] op_sel_hi:[0,1]
	v_mov_b32_e32 v60, v59
	v_pk_mul_f32 v[82:83], v[32:33], v[58:59]
	v_pk_fma_f32 v[30:31], v[0:1], v[54:55], v[30:31] op_sel:[0,1,0] op_sel_hi:[1,0,1] neg_lo:[1,0,0] neg_hi:[1,0,0]
	v_pk_add_f32 v[0:1], v[26:27], v[6:7]
	v_mov_b32_e32 v80, v61
	v_pk_fma_f32 v[46:47], v[34:35], v[50:51], v[68:69] op_sel:[0,0,1] op_sel_hi:[0,1,0]
	v_pk_fma_f32 v[48:49], v[34:35], v[50:51], v[68:69] op_sel:[0,0,1] op_sel_hi:[0,1,0] neg_lo:[1,0,0] neg_hi:[1,0,0]
	v_pk_mul_f32 v[34:35], v[74:75], v[72:73]
	v_mov_b32_e32 v50, v77
	v_pk_mul_f32 v[60:61], v[32:33], v[60:61]
	v_mov_b32_e32 v62, v83
	v_mov_b32_e32 v1, v30
	v_pk_fma_f32 v[34:35], v[2:3], v[56:57], v[34:35] op_sel_hi:[0,1,1]
	v_pk_fma_f32 v[50:51], v[74:75], v[56:57], v[50:51] neg_lo:[0,0,1] neg_hi:[0,0,1]
	v_pk_fma_f32 v[54:55], v[28:29], v[58:59], v[60:61] op_sel_hi:[0,1,1]
	v_pk_fma_f32 v[56:57], v[32:33], v[58:59], v[62:63] neg_lo:[0,0,1] neg_hi:[0,0,1]
	v_pk_add_f32 v[58:59], v[26:27], v[0:1]
	v_mov_b32_e32 v32, v34
	v_mov_b32_e32 v33, v50
	;; [unrolled: 1-line block ×3, first 2 shown]
	v_pk_fma_f32 v[52:53], v[78:79], v[80:81], v[22:23] op_sel_hi:[0,1,1]
	v_pk_fma_f32 v[22:23], v[78:79], v[80:81], v[22:23] op_sel_hi:[0,1,1] neg_lo:[0,0,1] neg_hi:[0,0,1]
	v_pk_add_f32 v[0:1], v[0:1], v[32:33]
	v_mov_b32_e32 v32, v54
	v_mov_b32_e32 v33, v56
	v_pk_add_f32 v[0:1], v[0:1], v[32:33]
	v_mov_b32_e32 v32, v52
	v_mov_b32_e32 v33, v23
	;; [unrolled: 3-line block ×8, first 2 shown]
	v_mov_b32_e32 v28, v16
	v_mov_b32_e32 v29, v19
	v_pk_add_f32 v[0:1], v[32:33], v[0:1]
	v_mov_b32_e32 v2, v8
	v_mov_b32_e32 v3, v15
	v_pk_add_f32 v[0:1], v[28:29], v[0:1]
	v_pk_add_f32 v[28:29], v[30:31], v[14:15] op_sel:[0,1] neg_lo:[0,1] neg_hi:[0,1]
	v_pk_add_f32 v[0:1], v[2:3], v[0:1]
	global_store_dwordx2 v[4:5], v[0:1], off
	v_pk_add_f32 v[0:1], v[6:7], v[8:9]
	v_pk_add_f32 v[2:3], v[6:7], v[8:9] neg_lo:[0,1] neg_hi:[0,1]
	v_pk_add_f32 v[6:7], v[34:35], v[16:17] neg_lo:[0,1] neg_hi:[0,1]
	v_mov_b32_e32 v1, v2
	v_pk_add_f32 v[2:3], v[34:35], v[16:17]
	v_pk_add_f32 v[8:9], v[54:55], v[84:85] neg_lo:[0,1] neg_hi:[0,1]
	v_mov_b32_e32 v3, v6
	v_pk_add_f32 v[6:7], v[54:55], v[84:85]
	v_pk_add_f32 v[14:15], v[30:31], v[14:15] op_sel_hi:[0,1]
	v_pk_add_f32 v[30:31], v[50:51], v[18:19] op_sel:[0,1] neg_lo:[0,1] neg_hi:[0,1]
	v_pk_add_f32 v[16:17], v[50:51], v[18:19] op_sel_hi:[0,1]
	v_mov_b32_e32 v7, v8
	v_pk_add_f32 v[32:33], v[56:57], v[10:11] op_sel:[0,1] neg_lo:[0,1] neg_hi:[0,1]
	v_pk_add_f32 v[18:19], v[56:57], v[10:11] op_sel_hi:[0,1]
	v_pk_add_f32 v[8:9], v[52:53], v[40:41]
	v_pk_add_f32 v[10:11], v[52:53], v[40:41] neg_lo:[0,1] neg_hi:[0,1]
	v_pk_add_f32 v[34:35], v[22:23], v[20:21] neg_lo:[0,1] neg_hi:[0,1]
	v_mov_b32_e32 v9, v10
	v_pk_add_f32 v[20:21], v[22:23], v[20:21]
	v_pk_add_f32 v[10:11], v[38:39], v[36:37]
	v_pk_add_f32 v[22:23], v[38:39], v[36:37] neg_lo:[0,1] neg_hi:[0,1]
	v_pk_add_f32 v[36:37], v[12:13], v[44:45] neg_lo:[0,1] neg_hi:[0,1]
	v_mov_b32_e32 v11, v22
	v_pk_add_f32 v[22:23], v[12:13], v[44:45]
	v_pk_add_f32 v[12:13], v[24:25], v[46:47]
	v_pk_add_f32 v[24:25], v[24:25], v[46:47] neg_lo:[0,1] neg_hi:[0,1]
	v_mov_b32_e32 v14, v28
	v_mov_b32_e32 v13, v24
	v_pk_add_f32 v[38:39], v[42:43], v[48:49] neg_lo:[0,1] neg_hi:[0,1]
	v_pk_add_f32 v[24:25], v[42:43], v[48:49]
	v_pk_mul_f32 v[42:43], v[0:1], s[0:1]
	v_mov_b32_e32 v16, v30
	v_pk_mul_f32 v[44:45], v[2:3], s[2:3]
	v_pk_fma_f32 v[40:41], v[28:29], s[16:17], v[42:43] neg_lo:[1,0,0] neg_hi:[1,0,0]
	v_pk_fma_f32 v[50:51], v[14:15], s[16:17], v[42:43]
	v_pk_fma_f32 v[52:53], v[30:31], s[26:27], v[44:45] neg_lo:[1,0,0] neg_hi:[1,0,0]
	v_mov_b32_e32 v41, v51
	v_pk_fma_f32 v[54:55], v[16:17], s[26:27], v[44:45]
	v_mov_b32_e32 v18, v32
	v_pk_mul_f32 v[46:47], v[6:7], s[8:9]
	v_pk_add_f32 v[40:41], v[26:27], v[40:41]
	v_mov_b32_e32 v53, v55
	v_pk_add_f32 v[40:41], v[40:41], v[52:53]
	v_pk_fma_f32 v[52:53], v[32:33], s[10:11], v[46:47] neg_lo:[1,0,0] neg_hi:[1,0,0]
	v_pk_fma_f32 v[56:57], v[18:19], s[10:11], v[46:47]
	v_mov_b32_e32 v20, v35
	v_pk_mul_f32 v[48:49], v[8:9], s[4:5]
	v_mov_b32_e32 v53, v57
	v_pk_add_f32 v[40:41], v[40:41], v[52:53]
	v_pk_fma_f32 v[52:53], v[34:35], s[14:15], v[48:49] op_sel:[1,0,0] neg_lo:[1,0,0] neg_hi:[1,0,0]
	v_pk_fma_f32 v[58:59], v[20:21], s[14:15], v[48:49]
	v_pk_fma_f32 v[42:43], v[14:15], s[16:17], v[42:43] neg_lo:[0,0,1] neg_hi:[0,0,1]
	v_mov_b32_e32 v53, v59
	v_mov_b32_e32 v22, v37
	v_pk_add_f32 v[40:41], v[40:41], v[52:53]
	v_pk_mul_f32 v[52:53], v[10:11], s[6:7]
	v_mov_b32_e32 v51, v43
	v_pk_fma_f32 v[42:43], v[16:17], s[26:27], v[44:45] neg_lo:[0,0,1] neg_hi:[0,0,1]
	v_pk_fma_f32 v[60:61], v[36:37], s[28:29], v[52:53] op_sel:[1,0,0] neg_lo:[1,0,0] neg_hi:[1,0,0]
	v_pk_fma_f32 v[62:63], v[22:23], s[28:29], v[52:53]
	v_mov_b32_e32 v55, v43
	v_pk_add_f32 v[42:43], v[26:27], v[50:51]
	v_pk_fma_f32 v[44:45], v[18:19], s[10:11], v[46:47] neg_lo:[0,0,1] neg_hi:[0,0,1]
	v_mov_b32_e32 v61, v63
	v_pk_add_f32 v[42:43], v[42:43], v[54:55]
	v_mov_b32_e32 v57, v45
	v_pk_fma_f32 v[44:45], v[20:21], s[14:15], v[48:49] neg_lo:[0,0,1] neg_hi:[0,0,1]
	v_pk_add_f32 v[40:41], v[40:41], v[60:61]
	v_mov_b32_e32 v24, v39
	v_pk_mul_f32 v[60:61], v[12:13], s[12:13]
	v_pk_add_f32 v[42:43], v[42:43], v[56:57]
	v_mov_b32_e32 v59, v45
	v_pk_fma_f32 v[44:45], v[22:23], s[28:29], v[52:53] neg_lo:[0,0,1] neg_hi:[0,0,1]
	v_pk_fma_f32 v[64:65], v[38:39], s[30:31], v[60:61] op_sel:[1,0,0] neg_lo:[1,0,0] neg_hi:[1,0,0]
	v_pk_fma_f32 v[66:67], v[24:25], s[30:31], v[60:61]
	v_pk_add_f32 v[42:43], v[42:43], v[58:59]
	v_mov_b32_e32 v63, v45
	v_pk_fma_f32 v[44:45], v[24:25], s[30:31], v[60:61] neg_lo:[0,0,1] neg_hi:[0,0,1]
	v_mov_b32_e32 v65, v67
	v_pk_add_f32 v[42:43], v[42:43], v[62:63]
	v_mov_b32_e32 v67, v45
	v_pk_add_f32 v[42:43], v[42:43], v[66:67]
	v_pk_mul_f32 v[44:45], v[14:15], s[26:27]
	global_store_dwordx2 v[4:5], v[42:43], off offset:96
	v_pk_fma_f32 v[42:43], v[0:1], s[2:3], v[44:45]
	v_pk_fma_f32 v[46:47], v[0:1], s[2:3], v[44:45] neg_lo:[1,0,0] neg_hi:[1,0,0]
	v_pk_mul_f32 v[48:49], v[16:17], s[14:15]
	v_mov_b32_e32 v46, v42
	v_pk_add_f32 v[50:51], v[26:27], v[46:47]
	v_pk_fma_f32 v[46:47], v[2:3], s[4:5], v[48:49]
	v_pk_fma_f32 v[52:53], v[2:3], s[4:5], v[48:49] neg_lo:[1,0,0] neg_hi:[1,0,0]
	s_mov_b32 s17, 0x3f29c268
	v_mov_b32_e32 v52, v46
	v_pk_add_f32 v[54:55], v[50:51], v[52:53]
	v_pk_mul_f32 v[52:53], v[18:19], s[30:31]
	s_mov_b32 s20, s17
	v_pk_fma_f32 v[50:51], v[6:7], s[12:13], v[52:53]
	v_pk_fma_f32 v[56:57], v[6:7], s[12:13], v[52:53] neg_lo:[1,0,0] neg_hi:[1,0,0]
	s_mov_b32 s16, s6
	v_mov_b32_e32 v56, v50
	v_pk_add_f32 v[58:59], v[54:55], v[56:57]
	v_pk_mul_f32 v[56:57], v[20:21], s[20:21]
	v_pk_add_f32 v[40:41], v[40:41], v[64:65]
	v_pk_fma_f32 v[54:55], v[8:9], s[16:17], v[56:57]
	v_pk_fma_f32 v[60:61], v[8:9], s[16:17], v[56:57] neg_lo:[1,0,0] neg_hi:[1,0,0]
	s_mov_b32 s1, 0x3eedf032
	v_mov_b32_e32 v60, v54
	v_pk_add_f32 v[62:63], v[58:59], v[60:61]
	v_pk_mul_f32 v[60:61], v[22:23], s[34:35]
	s_mov_b32 s22, s1
	v_pk_fma_f32 v[58:59], v[10:11], s[18:19], v[60:61]
	v_pk_fma_f32 v[64:65], v[10:11], s[18:19], v[60:61] neg_lo:[1,0,0] neg_hi:[1,0,0]
	v_pk_mul_f32 v[72:73], v[16:17], s[30:31]
	v_mov_b32_e32 v64, v58
	v_pk_add_f32 v[66:67], v[62:63], v[64:65]
	v_pk_mul_f32 v[64:65], v[24:25], s[22:23]
	v_pk_fma_f32 v[74:75], v[2:3], s[12:13], v[72:73]
	v_pk_fma_f32 v[62:63], v[12:13], s[0:1], v[64:65]
	v_pk_fma_f32 v[68:69], v[12:13], s[0:1], v[64:65] neg_lo:[1,0,0] neg_hi:[1,0,0]
	v_pk_fma_f32 v[76:77], v[2:3], s[12:13], v[72:73] neg_lo:[1,0,0] neg_hi:[1,0,0]
	v_mov_b32_e32 v68, v62
	v_pk_add_f32 v[66:67], v[66:67], v[68:69]
	global_store_dwordx2 v[4:5], v[66:67], off offset:192
	v_pk_mul_f32 v[66:67], v[14:15], s[10:11]
	v_mov_b32_e32 v76, v74
	v_pk_fma_f32 v[68:69], v[0:1], s[8:9], v[66:67]
	v_pk_fma_f32 v[70:71], v[0:1], s[8:9], v[66:67] neg_lo:[1,0,0] neg_hi:[1,0,0]
	v_pk_mul_f32 v[96:97], v[16:17], s[34:35]
	v_mov_b32_e32 v70, v68
	v_pk_add_f32 v[70:71], v[26:27], v[70:71]
	v_pk_fma_f32 v[98:99], v[2:3], s[18:19], v[96:97]
	v_pk_add_f32 v[70:71], v[70:71], v[76:77]
	v_pk_mul_f32 v[76:77], v[18:19], s[36:37]
	v_pk_fma_f32 v[100:101], v[2:3], s[18:19], v[96:97] neg_lo:[1,0,0] neg_hi:[1,0,0]
	v_pk_fma_f32 v[78:79], v[6:7], s[24:25], v[76:77]
	v_pk_fma_f32 v[80:81], v[6:7], s[24:25], v[76:77] neg_lo:[1,0,0] neg_hi:[1,0,0]
	v_mov_b32_e32 v100, v98
	v_mov_b32_e32 v80, v78
	v_pk_add_f32 v[70:71], v[70:71], v[80:81]
	v_pk_mul_f32 v[80:81], v[20:21], s[22:23]
	s_mov_b32 s37, 0x3e750f2a
	v_pk_fma_f32 v[82:83], v[8:9], s[0:1], v[80:81]
	v_pk_fma_f32 v[84:85], v[8:9], s[0:1], v[80:81] neg_lo:[1,0,0] neg_hi:[1,0,0]
	s_mov_b32 s36, s12
	v_mov_b32_e32 v84, v82
	v_pk_add_f32 v[70:71], v[70:71], v[84:85]
	v_pk_mul_f32 v[84:85], v[22:23], s[26:27]
	v_pk_mul_f32 v[120:121], v[16:17], s[22:23]
	v_pk_fma_f32 v[86:87], v[10:11], s[2:3], v[84:85]
	v_pk_fma_f32 v[88:89], v[10:11], s[2:3], v[84:85] neg_lo:[1,0,0] neg_hi:[1,0,0]
	v_pk_fma_f32 v[122:123], v[2:3], s[0:1], v[120:121]
	v_mov_b32_e32 v88, v86
	v_pk_add_f32 v[70:71], v[70:71], v[88:89]
	v_pk_mul_f32 v[88:89], v[24:25], s[28:29]
	v_pk_fma_f32 v[124:125], v[2:3], s[0:1], v[120:121] neg_lo:[1,0,0] neg_hi:[1,0,0]
	v_pk_fma_f32 v[90:91], v[12:13], s[6:7], v[88:89]
	v_pk_fma_f32 v[92:93], v[12:13], s[6:7], v[88:89] neg_lo:[1,0,0] neg_hi:[1,0,0]
	v_mov_b32_e32 v124, v122
	v_mov_b32_e32 v92, v90
	v_pk_add_f32 v[70:71], v[70:71], v[92:93]
	global_store_dwordx2 v[4:5], v[70:71], off offset:288
	v_pk_mul_f32 v[70:71], v[14:15], s[28:29]
	s_nop 0
	v_pk_fma_f32 v[92:93], v[0:1], s[6:7], v[70:71]
	v_pk_fma_f32 v[94:95], v[0:1], s[6:7], v[70:71] neg_lo:[1,0,0] neg_hi:[1,0,0]
	v_pk_fma_f32 v[70:71], v[0:1], s[6:7], v[70:71] neg_lo:[0,0,1] neg_hi:[0,0,1]
	v_mov_b32_e32 v94, v92
	v_pk_add_f32 v[94:95], v[26:27], v[94:95]
	v_mov_b32_e32 v71, v93
	v_pk_add_f32 v[94:95], v[94:95], v[100:101]
	v_pk_mul_f32 v[100:101], v[18:19], s[26:27]
	s_mov_b32 s26, s37
	v_pk_fma_f32 v[102:103], v[6:7], s[2:3], v[100:101]
	v_pk_fma_f32 v[104:105], v[6:7], s[2:3], v[100:101] neg_lo:[1,0,0] neg_hi:[1,0,0]
	s_mov_b32 s27, s12
	v_mov_b32_e32 v104, v102
	v_pk_add_f32 v[94:95], v[94:95], v[104:105]
	v_pk_mul_f32 v[104:105], v[20:21], s[26:27]
	v_pk_fma_f32 v[92:93], v[2:3], s[18:19], v[96:97] neg_lo:[0,0,1] neg_hi:[0,0,1]
	v_pk_fma_f32 v[106:107], v[8:9], s[36:37], v[104:105]
	v_pk_fma_f32 v[108:109], v[8:9], s[36:37], v[104:105] neg_lo:[1,0,0] neg_hi:[1,0,0]
	v_mov_b32_e32 v93, v99
	v_mov_b32_e32 v108, v106
	v_pk_add_f32 v[94:95], v[94:95], v[108:109]
	v_pk_mul_f32 v[108:109], v[22:23], s[22:23]
	v_pk_add_f32 v[70:71], v[26:27], v[70:71]
	v_pk_fma_f32 v[110:111], v[10:11], s[0:1], v[108:109]
	v_pk_fma_f32 v[112:113], v[10:11], s[0:1], v[108:109] neg_lo:[1,0,0] neg_hi:[1,0,0]
	v_pk_add_f32 v[70:71], v[70:71], v[92:93]
	v_mov_b32_e32 v112, v110
	v_pk_add_f32 v[94:95], v[94:95], v[112:113]
	v_pk_mul_f32 v[112:113], v[24:25], s[14:15]
	v_pk_fma_f32 v[92:93], v[6:7], s[2:3], v[100:101] neg_lo:[0,0,1] neg_hi:[0,0,1]
	v_pk_fma_f32 v[114:115], v[12:13], s[4:5], v[112:113]
	v_pk_fma_f32 v[116:117], v[12:13], s[4:5], v[112:113] neg_lo:[1,0,0] neg_hi:[1,0,0]
	v_mov_b32_e32 v93, v103
	v_mov_b32_e32 v116, v114
	v_pk_add_f32 v[94:95], v[94:95], v[116:117]
	global_store_dwordx2 v[4:5], v[94:95], off offset:480
	v_pk_mul_f32 v[94:95], v[14:15], s[30:31]
	s_mov_b32 s31, 0x3f52af12
	v_pk_fma_f32 v[116:117], v[0:1], s[12:13], v[94:95]
	v_pk_fma_f32 v[118:119], v[0:1], s[12:13], v[94:95] neg_lo:[1,0,0] neg_hi:[1,0,0]
	v_pk_fma_f32 v[94:95], v[0:1], s[12:13], v[94:95] neg_lo:[0,0,1] neg_hi:[0,0,1]
	v_mov_b32_e32 v118, v116
	v_pk_add_f32 v[118:119], v[26:27], v[118:119]
	v_mov_b32_e32 v95, v117
	v_pk_add_f32 v[118:119], v[118:119], v[124:125]
	v_pk_mul_f32 v[124:125], v[18:19], s[28:29]
	s_mov_b32 s28, s31
	v_pk_fma_f32 v[126:127], v[6:7], s[6:7], v[124:125]
	v_pk_fma_f32 v[128:129], v[6:7], s[6:7], v[124:125] neg_lo:[1,0,0] neg_hi:[1,0,0]
	s_mov_b32 s29, s2
	v_mov_b32_e32 v128, v126
	v_pk_fma_f32 v[116:117], v[2:3], s[0:1], v[120:121] neg_lo:[0,0,1] neg_hi:[0,0,1]
	v_pk_add_f32 v[118:119], v[118:119], v[128:129]
	s_mov_b32 s30, s2
	v_pk_mul_f32 v[128:129], v[20:21], s[28:29]
	v_mov_b32_e32 v117, v123
	v_pk_add_f32 v[94:95], v[26:27], v[94:95]
	v_pk_fma_f32 v[130:131], v[8:9], s[30:31], v[128:129]
	v_pk_fma_f32 v[132:133], v[8:9], s[30:31], v[128:129] neg_lo:[1,0,0] neg_hi:[1,0,0]
	v_pk_add_f32 v[94:95], v[94:95], v[116:117]
	v_pk_fma_f32 v[116:117], v[6:7], s[6:7], v[124:125] neg_lo:[0,0,1] neg_hi:[0,0,1]
	v_mov_b32_e32 v132, v130
	v_mov_b32_e32 v117, v127
	v_pk_add_f32 v[70:71], v[70:71], v[92:93]
	v_pk_fma_f32 v[92:93], v[8:9], s[36:37], v[104:105] neg_lo:[0,0,1] neg_hi:[0,0,1]
	v_pk_add_f32 v[118:119], v[118:119], v[132:133]
	v_pk_mul_f32 v[132:133], v[22:23], s[14:15]
	v_pk_add_f32 v[94:95], v[94:95], v[116:117]
	v_pk_fma_f32 v[116:117], v[8:9], s[30:31], v[128:129] neg_lo:[0,0,1] neg_hi:[0,0,1]
	v_mov_b32_e32 v93, v107
	v_pk_fma_f32 v[134:135], v[10:11], s[4:5], v[132:133]
	v_pk_fma_f32 v[136:137], v[10:11], s[4:5], v[132:133] neg_lo:[1,0,0] neg_hi:[1,0,0]
	v_mov_b32_e32 v117, v131
	v_pk_add_f32 v[70:71], v[70:71], v[92:93]
	v_pk_fma_f32 v[92:93], v[10:11], s[0:1], v[108:109] neg_lo:[0,0,1] neg_hi:[0,0,1]
	v_mov_b32_e32 v136, v134
	v_pk_add_f32 v[94:95], v[94:95], v[116:117]
	;; [unrolled: 3-line block ×3, first 2 shown]
	v_pk_mul_f32 v[136:137], v[24:25], s[34:35]
	v_mov_b32_e32 v117, v135
	v_pk_add_f32 v[70:71], v[70:71], v[92:93]
	v_pk_fma_f32 v[92:93], v[12:13], s[4:5], v[112:113] neg_lo:[0,0,1] neg_hi:[0,0,1]
	v_pk_fma_f32 v[138:139], v[12:13], s[18:19], v[136:137]
	v_pk_add_f32 v[94:95], v[94:95], v[116:117]
	v_pk_fma_f32 v[116:117], v[12:13], s[18:19], v[136:137] neg_lo:[0,0,1] neg_hi:[0,0,1]
	v_mov_b32_e32 v93, v115
	v_mov_b32_e32 v117, v139
	v_pk_add_f32 v[70:71], v[70:71], v[92:93]
	v_pk_add_f32 v[94:95], v[94:95], v[116:117]
	global_store_dwordx2 v[4:5], v[70:71], off offset:768
	v_pk_mul_f32 v[70:71], v[0:1], s[4:5]
	global_store_dwordx2 v[4:5], v[94:95], off offset:672
	v_pk_fma_f32 v[28:29], v[28:29], s[14:15], v[70:71] neg_lo:[1,0,0] neg_hi:[1,0,0]
	v_pk_fma_f32 v[92:93], v[14:15], s[14:15], v[70:71]
	v_pk_mul_f32 v[94:95], v[2:3], s[16:17]
	v_mov_b32_e32 v29, v93
	v_pk_fma_f32 v[30:31], v[30:31], s[20:21], v[94:95] neg_lo:[1,0,0] neg_hi:[1,0,0]
	v_pk_fma_f32 v[96:97], v[16:17], s[20:21], v[94:95]
	v_pk_add_f32 v[28:29], v[26:27], v[28:29]
	v_mov_b32_e32 v31, v97
	v_pk_add_f32 v[28:29], v[28:29], v[30:31]
	v_pk_mul_f32 v[30:31], v[6:7], s[0:1]
	v_pk_fma_f32 v[14:15], v[14:15], s[14:15], v[70:71] neg_lo:[0,0,1] neg_hi:[0,0,1]
	v_pk_fma_f32 v[32:33], v[32:33], s[22:23], v[30:31] neg_lo:[1,0,0] neg_hi:[1,0,0]
	v_pk_fma_f32 v[98:99], v[18:19], s[22:23], v[30:31]
	v_mov_b32_e32 v93, v15
	v_mov_b32_e32 v33, v99
	v_pk_add_f32 v[28:29], v[28:29], v[32:33]
	v_pk_mul_f32 v[32:33], v[8:9], s[8:9]
	v_pk_fma_f32 v[14:15], v[16:17], s[20:21], v[94:95] neg_lo:[0,0,1] neg_hi:[0,0,1]
	v_pk_fma_f32 v[34:35], v[34:35], s[10:11], v[32:33] op_sel:[1,0,0] neg_lo:[1,0,0] neg_hi:[1,0,0]
	v_pk_fma_f32 v[100:101], v[20:21], s[10:11], v[32:33]
	v_mov_b32_e32 v97, v15
	v_mov_b32_e32 v35, v101
	v_pk_add_f32 v[28:29], v[28:29], v[34:35]
	v_pk_mul_f32 v[34:35], v[10:11], s[36:37]
	v_pk_add_f32 v[14:15], v[26:27], v[92:93]
	v_pk_fma_f32 v[36:37], v[36:37], s[26:27], v[34:35] op_sel:[1,0,0] neg_lo:[1,0,0] neg_hi:[1,0,0]
	v_pk_fma_f32 v[102:103], v[22:23], s[26:27], v[34:35]
	v_pk_fma_f32 v[16:17], v[18:19], s[22:23], v[30:31] neg_lo:[0,0,1] neg_hi:[0,0,1]
	v_mov_b32_e32 v37, v103
	v_pk_add_f32 v[14:15], v[14:15], v[96:97]
	v_mov_b32_e32 v99, v17
	v_pk_fma_f32 v[16:17], v[20:21], s[10:11], v[32:33] neg_lo:[0,0,1] neg_hi:[0,0,1]
	v_pk_add_f32 v[28:29], v[28:29], v[36:37]
	v_pk_mul_f32 v[36:37], v[12:13], s[30:31]
	v_pk_add_f32 v[14:15], v[14:15], v[98:99]
	v_mov_b32_e32 v101, v17
	v_pk_fma_f32 v[16:17], v[22:23], s[26:27], v[34:35] neg_lo:[0,0,1] neg_hi:[0,0,1]
	v_pk_fma_f32 v[140:141], v[12:13], s[18:19], v[136:137] neg_lo:[1,0,0] neg_hi:[1,0,0]
	v_pk_fma_f32 v[38:39], v[38:39], s[28:29], v[36:37] op_sel:[1,0,0] neg_lo:[1,0,0] neg_hi:[1,0,0]
	v_pk_fma_f32 v[104:105], v[24:25], s[28:29], v[36:37]
	v_pk_add_f32 v[14:15], v[14:15], v[100:101]
	v_mov_b32_e32 v103, v17
	v_pk_fma_f32 v[16:17], v[24:25], s[28:29], v[36:37] neg_lo:[0,0,1] neg_hi:[0,0,1]
	v_mov_b32_e32 v140, v138
	v_mov_b32_e32 v39, v105
	v_pk_add_f32 v[14:15], v[14:15], v[102:103]
	v_mov_b32_e32 v105, v17
	v_pk_add_f32 v[118:119], v[118:119], v[140:141]
	v_pk_add_f32 v[14:15], v[14:15], v[104:105]
	global_store_dwordx2 v[4:5], v[118:119], off offset:576
	v_pk_add_f32 v[28:29], v[28:29], v[38:39]
	global_store_dwordx2 v[4:5], v[14:15], off offset:384
	global_store_dwordx2 v[4:5], v[28:29], off offset:864
	v_pk_fma_f32 v[14:15], v[0:1], s[8:9], v[66:67] neg_lo:[0,0,1] neg_hi:[0,0,1]
	v_pk_fma_f32 v[0:1], v[0:1], s[2:3], v[44:45] neg_lo:[0,0,1] neg_hi:[0,0,1]
	v_mov_b32_e32 v15, v69
	v_pk_fma_f32 v[16:17], v[2:3], s[12:13], v[72:73] neg_lo:[0,0,1] neg_hi:[0,0,1]
	v_mov_b32_e32 v1, v43
	;; [unrolled: 2-line block ×3, first 2 shown]
	v_pk_add_f32 v[14:15], v[26:27], v[14:15]
	v_pk_add_f32 v[0:1], v[26:27], v[0:1]
	v_mov_b32_e32 v3, v47
	v_pk_add_f32 v[14:15], v[14:15], v[16:17]
	v_pk_fma_f32 v[16:17], v[6:7], s[24:25], v[76:77] neg_lo:[0,0,1] neg_hi:[0,0,1]
	v_pk_add_f32 v[0:1], v[0:1], v[2:3]
	v_pk_fma_f32 v[2:3], v[6:7], s[12:13], v[52:53] neg_lo:[0,0,1] neg_hi:[0,0,1]
	v_mov_b32_e32 v17, v79
	v_mov_b32_e32 v3, v51
	v_pk_add_f32 v[14:15], v[14:15], v[16:17]
	v_pk_fma_f32 v[16:17], v[8:9], s[0:1], v[80:81] neg_lo:[0,0,1] neg_hi:[0,0,1]
	v_pk_add_f32 v[0:1], v[0:1], v[2:3]
	v_pk_fma_f32 v[2:3], v[8:9], s[16:17], v[56:57] neg_lo:[0,0,1] neg_hi:[0,0,1]
	v_mov_b32_e32 v17, v83
	;; [unrolled: 6-line block ×4, first 2 shown]
	v_mov_b32_e32 v3, v63
	v_pk_add_f32 v[14:15], v[14:15], v[16:17]
	v_pk_add_f32 v[0:1], v[0:1], v[2:3]
	global_store_dwordx2 v[4:5], v[14:15], off offset:960
	global_store_dwordx2 v[4:5], v[0:1], off offset:1056
	;; [unrolled: 1-line block ×3, first 2 shown]
.LBB0_16:
	s_endpgm
	.section	.rodata,"a",@progbits
	.p2align	6, 0x0
	.amdhsa_kernel fft_rtc_back_len156_factors_3_4_13_wgs_117_tpt_13_sp_op_CI_CI_unitstride_sbrr_dirReg
		.amdhsa_group_segment_fixed_size 0
		.amdhsa_private_segment_fixed_size 0
		.amdhsa_kernarg_size 104
		.amdhsa_user_sgpr_count 2
		.amdhsa_user_sgpr_dispatch_ptr 0
		.amdhsa_user_sgpr_queue_ptr 0
		.amdhsa_user_sgpr_kernarg_segment_ptr 1
		.amdhsa_user_sgpr_dispatch_id 0
		.amdhsa_user_sgpr_kernarg_preload_length 0
		.amdhsa_user_sgpr_kernarg_preload_offset 0
		.amdhsa_user_sgpr_private_segment_size 0
		.amdhsa_uses_dynamic_stack 0
		.amdhsa_enable_private_segment 0
		.amdhsa_system_sgpr_workgroup_id_x 1
		.amdhsa_system_sgpr_workgroup_id_y 0
		.amdhsa_system_sgpr_workgroup_id_z 0
		.amdhsa_system_sgpr_workgroup_info 0
		.amdhsa_system_vgpr_workitem_id 0
		.amdhsa_next_free_vgpr 142
		.amdhsa_next_free_sgpr 38
		.amdhsa_accum_offset 144
		.amdhsa_reserve_vcc 1
		.amdhsa_float_round_mode_32 0
		.amdhsa_float_round_mode_16_64 0
		.amdhsa_float_denorm_mode_32 3
		.amdhsa_float_denorm_mode_16_64 3
		.amdhsa_dx10_clamp 1
		.amdhsa_ieee_mode 1
		.amdhsa_fp16_overflow 0
		.amdhsa_tg_split 0
		.amdhsa_exception_fp_ieee_invalid_op 0
		.amdhsa_exception_fp_denorm_src 0
		.amdhsa_exception_fp_ieee_div_zero 0
		.amdhsa_exception_fp_ieee_overflow 0
		.amdhsa_exception_fp_ieee_underflow 0
		.amdhsa_exception_fp_ieee_inexact 0
		.amdhsa_exception_int_div_zero 0
	.end_amdhsa_kernel
	.text
.Lfunc_end0:
	.size	fft_rtc_back_len156_factors_3_4_13_wgs_117_tpt_13_sp_op_CI_CI_unitstride_sbrr_dirReg, .Lfunc_end0-fft_rtc_back_len156_factors_3_4_13_wgs_117_tpt_13_sp_op_CI_CI_unitstride_sbrr_dirReg
                                        ; -- End function
	.section	.AMDGPU.csdata,"",@progbits
; Kernel info:
; codeLenInByte = 6348
; NumSgprs: 44
; NumVgprs: 142
; NumAgprs: 0
; TotalNumVgprs: 142
; ScratchSize: 0
; MemoryBound: 0
; FloatMode: 240
; IeeeMode: 1
; LDSByteSize: 0 bytes/workgroup (compile time only)
; SGPRBlocks: 5
; VGPRBlocks: 17
; NumSGPRsForWavesPerEU: 44
; NumVGPRsForWavesPerEU: 142
; AccumOffset: 144
; Occupancy: 3
; WaveLimiterHint : 1
; COMPUTE_PGM_RSRC2:SCRATCH_EN: 0
; COMPUTE_PGM_RSRC2:USER_SGPR: 2
; COMPUTE_PGM_RSRC2:TRAP_HANDLER: 0
; COMPUTE_PGM_RSRC2:TGID_X_EN: 1
; COMPUTE_PGM_RSRC2:TGID_Y_EN: 0
; COMPUTE_PGM_RSRC2:TGID_Z_EN: 0
; COMPUTE_PGM_RSRC2:TIDIG_COMP_CNT: 0
; COMPUTE_PGM_RSRC3_GFX90A:ACCUM_OFFSET: 35
; COMPUTE_PGM_RSRC3_GFX90A:TG_SPLIT: 0
	.text
	.p2alignl 6, 3212836864
	.fill 256, 4, 3212836864
	.type	__hip_cuid_2efd80ccbdb59b3c,@object ; @__hip_cuid_2efd80ccbdb59b3c
	.section	.bss,"aw",@nobits
	.globl	__hip_cuid_2efd80ccbdb59b3c
__hip_cuid_2efd80ccbdb59b3c:
	.byte	0                               ; 0x0
	.size	__hip_cuid_2efd80ccbdb59b3c, 1

	.ident	"AMD clang version 19.0.0git (https://github.com/RadeonOpenCompute/llvm-project roc-6.4.0 25133 c7fe45cf4b819c5991fe208aaa96edf142730f1d)"
	.section	".note.GNU-stack","",@progbits
	.addrsig
	.addrsig_sym __hip_cuid_2efd80ccbdb59b3c
	.amdgpu_metadata
---
amdhsa.kernels:
  - .agpr_count:     0
    .args:
      - .actual_access:  read_only
        .address_space:  global
        .offset:         0
        .size:           8
        .value_kind:     global_buffer
      - .offset:         8
        .size:           8
        .value_kind:     by_value
      - .actual_access:  read_only
        .address_space:  global
        .offset:         16
        .size:           8
        .value_kind:     global_buffer
      - .actual_access:  read_only
        .address_space:  global
        .offset:         24
        .size:           8
        .value_kind:     global_buffer
      - .actual_access:  read_only
        .address_space:  global
        .offset:         32
        .size:           8
        .value_kind:     global_buffer
      - .offset:         40
        .size:           8
        .value_kind:     by_value
      - .actual_access:  read_only
        .address_space:  global
        .offset:         48
        .size:           8
        .value_kind:     global_buffer
      - .actual_access:  read_only
        .address_space:  global
        .offset:         56
        .size:           8
        .value_kind:     global_buffer
      - .offset:         64
        .size:           4
        .value_kind:     by_value
      - .actual_access:  read_only
        .address_space:  global
        .offset:         72
        .size:           8
        .value_kind:     global_buffer
      - .actual_access:  read_only
        .address_space:  global
        .offset:         80
        .size:           8
        .value_kind:     global_buffer
      - .actual_access:  read_only
        .address_space:  global
        .offset:         88
        .size:           8
        .value_kind:     global_buffer
      - .actual_access:  write_only
        .address_space:  global
        .offset:         96
        .size:           8
        .value_kind:     global_buffer
    .group_segment_fixed_size: 0
    .kernarg_segment_align: 8
    .kernarg_segment_size: 104
    .language:       OpenCL C
    .language_version:
      - 2
      - 0
    .max_flat_workgroup_size: 117
    .name:           fft_rtc_back_len156_factors_3_4_13_wgs_117_tpt_13_sp_op_CI_CI_unitstride_sbrr_dirReg
    .private_segment_fixed_size: 0
    .sgpr_count:     44
    .sgpr_spill_count: 0
    .symbol:         fft_rtc_back_len156_factors_3_4_13_wgs_117_tpt_13_sp_op_CI_CI_unitstride_sbrr_dirReg.kd
    .uniform_work_group_size: 1
    .uses_dynamic_stack: false
    .vgpr_count:     142
    .vgpr_spill_count: 0
    .wavefront_size: 64
amdhsa.target:   amdgcn-amd-amdhsa--gfx950
amdhsa.version:
  - 1
  - 2
...

	.end_amdgpu_metadata
